;; amdgpu-corpus repo=ROCm/rocFFT kind=compiled arch=gfx906 opt=O3
	.text
	.amdgcn_target "amdgcn-amd-amdhsa--gfx906"
	.amdhsa_code_object_version 6
	.protected	fft_rtc_fwd_len70_factors_2_5_7_wgs_252_tpt_14_halfLds_dp_ip_CI_unitstride_sbrr_dirReg ; -- Begin function fft_rtc_fwd_len70_factors_2_5_7_wgs_252_tpt_14_halfLds_dp_ip_CI_unitstride_sbrr_dirReg
	.globl	fft_rtc_fwd_len70_factors_2_5_7_wgs_252_tpt_14_halfLds_dp_ip_CI_unitstride_sbrr_dirReg
	.p2align	8
	.type	fft_rtc_fwd_len70_factors_2_5_7_wgs_252_tpt_14_halfLds_dp_ip_CI_unitstride_sbrr_dirReg,@function
fft_rtc_fwd_len70_factors_2_5_7_wgs_252_tpt_14_halfLds_dp_ip_CI_unitstride_sbrr_dirReg: ; @fft_rtc_fwd_len70_factors_2_5_7_wgs_252_tpt_14_halfLds_dp_ip_CI_unitstride_sbrr_dirReg
; %bb.0:
	s_load_dwordx2 s[2:3], s[4:5], 0x50
	s_load_dwordx4 s[8:11], s[4:5], 0x0
	s_load_dwordx2 s[12:13], s[4:5], 0x18
	v_mul_u32_u24_e32 v1, 0x124a, v0
	v_lshrrev_b32_e32 v1, 16, v1
	v_mad_u64_u32 v[1:2], s[0:1], s6, 18, v[1:2]
	v_mov_b32_e32 v5, 0
	s_waitcnt lgkmcnt(0)
	v_cmp_lt_u64_e64 s[0:1], s[10:11], 2
	v_mov_b32_e32 v2, v5
	v_mov_b32_e32 v3, 0
	;; [unrolled: 1-line block ×3, first 2 shown]
	s_and_b64 vcc, exec, s[0:1]
	v_mov_b32_e32 v4, 0
	v_mov_b32_e32 v9, v1
	s_cbranch_vccnz .LBB0_8
; %bb.1:
	s_load_dwordx2 s[0:1], s[4:5], 0x10
	s_add_u32 s6, s12, 8
	s_addc_u32 s7, s13, 0
	v_mov_b32_e32 v3, 0
	v_mov_b32_e32 v8, v2
	s_waitcnt lgkmcnt(0)
	s_add_u32 s16, s0, 8
	s_mov_b64 s[14:15], 1
	v_mov_b32_e32 v4, 0
	s_addc_u32 s17, s1, 0
	v_mov_b32_e32 v7, v1
.LBB0_2:                                ; =>This Inner Loop Header: Depth=1
	s_load_dwordx2 s[18:19], s[16:17], 0x0
                                        ; implicit-def: $vgpr9_vgpr10
	s_waitcnt lgkmcnt(0)
	v_or_b32_e32 v6, s19, v8
	v_cmp_ne_u64_e32 vcc, 0, v[5:6]
	s_and_saveexec_b64 s[0:1], vcc
	s_xor_b64 s[20:21], exec, s[0:1]
	s_cbranch_execz .LBB0_4
; %bb.3:                                ;   in Loop: Header=BB0_2 Depth=1
	v_cvt_f32_u32_e32 v2, s18
	v_cvt_f32_u32_e32 v6, s19
	s_sub_u32 s0, 0, s18
	s_subb_u32 s1, 0, s19
	v_mac_f32_e32 v2, 0x4f800000, v6
	v_rcp_f32_e32 v2, v2
	v_mul_f32_e32 v2, 0x5f7ffffc, v2
	v_mul_f32_e32 v6, 0x2f800000, v2
	v_trunc_f32_e32 v6, v6
	v_mac_f32_e32 v2, 0xcf800000, v6
	v_cvt_u32_f32_e32 v6, v6
	v_cvt_u32_f32_e32 v2, v2
	v_mul_lo_u32 v9, s0, v6
	v_mul_hi_u32 v10, s0, v2
	v_mul_lo_u32 v12, s1, v2
	v_mul_lo_u32 v11, s0, v2
	v_add_u32_e32 v9, v10, v9
	v_add_u32_e32 v9, v9, v12
	v_mul_hi_u32 v10, v2, v11
	v_mul_lo_u32 v12, v2, v9
	v_mul_hi_u32 v14, v2, v9
	v_mul_hi_u32 v13, v6, v11
	v_mul_lo_u32 v11, v6, v11
	v_mul_hi_u32 v15, v6, v9
	v_add_co_u32_e32 v10, vcc, v10, v12
	v_addc_co_u32_e32 v12, vcc, 0, v14, vcc
	v_mul_lo_u32 v9, v6, v9
	v_add_co_u32_e32 v10, vcc, v10, v11
	v_addc_co_u32_e32 v10, vcc, v12, v13, vcc
	v_addc_co_u32_e32 v11, vcc, 0, v15, vcc
	v_add_co_u32_e32 v9, vcc, v10, v9
	v_addc_co_u32_e32 v10, vcc, 0, v11, vcc
	v_add_co_u32_e32 v2, vcc, v2, v9
	v_addc_co_u32_e32 v6, vcc, v6, v10, vcc
	v_mul_lo_u32 v9, s0, v6
	v_mul_hi_u32 v10, s0, v2
	v_mul_lo_u32 v11, s1, v2
	v_mul_lo_u32 v12, s0, v2
	v_add_u32_e32 v9, v10, v9
	v_add_u32_e32 v9, v9, v11
	v_mul_lo_u32 v13, v2, v9
	v_mul_hi_u32 v14, v2, v12
	v_mul_hi_u32 v15, v2, v9
	;; [unrolled: 1-line block ×3, first 2 shown]
	v_mul_lo_u32 v12, v6, v12
	v_mul_hi_u32 v10, v6, v9
	v_add_co_u32_e32 v13, vcc, v14, v13
	v_addc_co_u32_e32 v14, vcc, 0, v15, vcc
	v_mul_lo_u32 v9, v6, v9
	v_add_co_u32_e32 v12, vcc, v13, v12
	v_addc_co_u32_e32 v11, vcc, v14, v11, vcc
	v_addc_co_u32_e32 v10, vcc, 0, v10, vcc
	v_add_co_u32_e32 v9, vcc, v11, v9
	v_addc_co_u32_e32 v10, vcc, 0, v10, vcc
	v_add_co_u32_e32 v2, vcc, v2, v9
	v_addc_co_u32_e32 v6, vcc, v6, v10, vcc
	v_mad_u64_u32 v[9:10], s[0:1], v7, v6, 0
	v_mul_hi_u32 v11, v7, v2
	v_add_co_u32_e32 v13, vcc, v11, v9
	v_addc_co_u32_e32 v14, vcc, 0, v10, vcc
	v_mad_u64_u32 v[9:10], s[0:1], v8, v2, 0
	v_mad_u64_u32 v[11:12], s[0:1], v8, v6, 0
	v_add_co_u32_e32 v2, vcc, v13, v9
	v_addc_co_u32_e32 v2, vcc, v14, v10, vcc
	v_addc_co_u32_e32 v6, vcc, 0, v12, vcc
	v_add_co_u32_e32 v2, vcc, v2, v11
	v_addc_co_u32_e32 v6, vcc, 0, v6, vcc
	v_mul_lo_u32 v11, s19, v2
	v_mul_lo_u32 v12, s18, v6
	v_mad_u64_u32 v[9:10], s[0:1], s18, v2, 0
	v_add3_u32 v10, v10, v12, v11
	v_sub_u32_e32 v11, v8, v10
	v_mov_b32_e32 v12, s19
	v_sub_co_u32_e32 v9, vcc, v7, v9
	v_subb_co_u32_e64 v11, s[0:1], v11, v12, vcc
	v_subrev_co_u32_e64 v12, s[0:1], s18, v9
	v_subbrev_co_u32_e64 v11, s[0:1], 0, v11, s[0:1]
	v_cmp_le_u32_e64 s[0:1], s19, v11
	v_cndmask_b32_e64 v13, 0, -1, s[0:1]
	v_cmp_le_u32_e64 s[0:1], s18, v12
	v_cndmask_b32_e64 v12, 0, -1, s[0:1]
	v_cmp_eq_u32_e64 s[0:1], s19, v11
	v_cndmask_b32_e64 v11, v13, v12, s[0:1]
	v_add_co_u32_e64 v12, s[0:1], 2, v2
	v_addc_co_u32_e64 v13, s[0:1], 0, v6, s[0:1]
	v_add_co_u32_e64 v14, s[0:1], 1, v2
	v_addc_co_u32_e64 v15, s[0:1], 0, v6, s[0:1]
	v_subb_co_u32_e32 v10, vcc, v8, v10, vcc
	v_cmp_ne_u32_e64 s[0:1], 0, v11
	v_cmp_le_u32_e32 vcc, s19, v10
	v_cndmask_b32_e64 v11, v15, v13, s[0:1]
	v_cndmask_b32_e64 v13, 0, -1, vcc
	v_cmp_le_u32_e32 vcc, s18, v9
	v_cndmask_b32_e64 v9, 0, -1, vcc
	v_cmp_eq_u32_e32 vcc, s19, v10
	v_cndmask_b32_e32 v9, v13, v9, vcc
	v_cmp_ne_u32_e32 vcc, 0, v9
	v_cndmask_b32_e32 v10, v6, v11, vcc
	v_cndmask_b32_e64 v6, v14, v12, s[0:1]
	v_cndmask_b32_e32 v9, v2, v6, vcc
.LBB0_4:                                ;   in Loop: Header=BB0_2 Depth=1
	s_andn2_saveexec_b64 s[0:1], s[20:21]
	s_cbranch_execz .LBB0_6
; %bb.5:                                ;   in Loop: Header=BB0_2 Depth=1
	v_cvt_f32_u32_e32 v2, s18
	s_sub_i32 s20, 0, s18
	v_rcp_iflag_f32_e32 v2, v2
	v_mul_f32_e32 v2, 0x4f7ffffe, v2
	v_cvt_u32_f32_e32 v2, v2
	v_mul_lo_u32 v6, s20, v2
	v_mul_hi_u32 v6, v2, v6
	v_add_u32_e32 v2, v2, v6
	v_mul_hi_u32 v2, v7, v2
	v_mul_lo_u32 v6, v2, s18
	v_add_u32_e32 v9, 1, v2
	v_sub_u32_e32 v6, v7, v6
	v_subrev_u32_e32 v10, s18, v6
	v_cmp_le_u32_e32 vcc, s18, v6
	v_cndmask_b32_e32 v6, v6, v10, vcc
	v_cndmask_b32_e32 v2, v2, v9, vcc
	v_add_u32_e32 v9, 1, v2
	v_cmp_le_u32_e32 vcc, s18, v6
	v_cndmask_b32_e32 v9, v2, v9, vcc
	v_mov_b32_e32 v10, v5
.LBB0_6:                                ;   in Loop: Header=BB0_2 Depth=1
	s_or_b64 exec, exec, s[0:1]
	v_mul_lo_u32 v2, v10, s18
	v_mul_lo_u32 v6, v9, s19
	v_mad_u64_u32 v[11:12], s[0:1], v9, s18, 0
	s_load_dwordx2 s[0:1], s[6:7], 0x0
	s_add_u32 s14, s14, 1
	v_add3_u32 v2, v12, v6, v2
	v_sub_co_u32_e32 v6, vcc, v7, v11
	v_subb_co_u32_e32 v2, vcc, v8, v2, vcc
	s_waitcnt lgkmcnt(0)
	v_mul_lo_u32 v2, s0, v2
	v_mul_lo_u32 v7, s1, v6
	v_mad_u64_u32 v[3:4], s[0:1], s0, v6, v[3:4]
	s_addc_u32 s15, s15, 0
	s_add_u32 s6, s6, 8
	v_add3_u32 v4, v7, v4, v2
	v_mov_b32_e32 v6, s10
	v_mov_b32_e32 v7, s11
	s_addc_u32 s7, s7, 0
	v_cmp_ge_u64_e32 vcc, s[14:15], v[6:7]
	s_add_u32 s16, s16, 8
	s_addc_u32 s17, s17, 0
	s_cbranch_vccnz .LBB0_8
; %bb.7:                                ;   in Loop: Header=BB0_2 Depth=1
	v_mov_b32_e32 v7, v9
	v_mov_b32_e32 v8, v10
	s_branch .LBB0_2
.LBB0_8:
	s_lshl_b64 s[0:1], s[10:11], 3
	s_add_u32 s0, s12, s0
	s_addc_u32 s1, s13, s1
	s_load_dwordx2 s[6:7], s[0:1], 0x0
	s_load_dwordx2 s[10:11], s[4:5], 0x20
                                        ; implicit-def: $vgpr24_vgpr25
                                        ; implicit-def: $vgpr20_vgpr21
                                        ; implicit-def: $vgpr16_vgpr17
                                        ; implicit-def: $vgpr28_vgpr29
                                        ; implicit-def: $vgpr12_vgpr13
	s_waitcnt lgkmcnt(0)
	v_mad_u64_u32 v[2:3], s[0:1], s6, v9, v[3:4]
	v_mul_lo_u32 v5, s6, v10
	v_mul_lo_u32 v6, s7, v9
	s_mov_b32 s0, 0x12492493
	v_mul_hi_u32 v4, v0, s0
	v_cmp_gt_u64_e32 vcc, s[10:11], v[9:10]
	v_add3_u32 v3, v6, v3, v5
	v_lshlrev_b64 v[32:33], 4, v[2:3]
	v_mul_u32_u24_e32 v4, 14, v4
	v_sub_u32_e32 v30, v0, v4
                                        ; implicit-def: $vgpr8_vgpr9
	s_and_saveexec_b64 s[4:5], vcc
	s_cbranch_execz .LBB0_12
; %bb.9:
	v_mov_b32_e32 v31, 0
	v_mov_b32_e32 v0, s3
	v_add_co_u32_e64 v4, s[0:1], s2, v32
	v_lshlrev_b64 v[2:3], 4, v[30:31]
	v_addc_co_u32_e64 v0, s[0:1], v0, v33, s[0:1]
	v_add_co_u32_e64 v2, s[0:1], v4, v2
	v_addc_co_u32_e64 v3, s[0:1], v0, v3, s[0:1]
	global_load_dwordx4 v[10:13], v[2:3], off
	global_load_dwordx4 v[14:17], v[2:3], off offset:224
	global_load_dwordx4 v[26:29], v[2:3], off offset:560
	;; [unrolled: 1-line block ×3, first 2 shown]
	v_cmp_gt_u32_e64 s[0:1], 7, v30
                                        ; implicit-def: $vgpr6_vgpr7
                                        ; implicit-def: $vgpr22_vgpr23
	s_and_saveexec_b64 s[6:7], s[0:1]
	s_cbranch_execz .LBB0_11
; %bb.10:
	global_load_dwordx4 v[6:9], v[2:3], off offset:448
	global_load_dwordx4 v[22:25], v[2:3], off offset:1008
.LBB0_11:
	s_or_b64 exec, exec, s[6:7]
.LBB0_12:
	s_or_b64 exec, exec, s[4:5]
	s_waitcnt vmcnt(1)
	v_add_f64 v[36:37], v[10:11], -v[26:27]
	s_waitcnt vmcnt(0)
	v_add_f64 v[40:41], v[14:15], -v[18:19]
	s_mov_b32 s0, 0x38e38e39
	v_mul_hi_u32 v2, v1, s0
	v_add_f64 v[4:5], v[6:7], -v[22:23]
	v_lshl_add_u32 v0, v30, 4, 0
	v_add_u32_e32 v3, 28, v30
	v_lshrrev_b32_e32 v2, 2, v2
	v_fma_f64 v[34:35], v[10:11], 2.0, -v[36:37]
	v_mul_lo_u32 v2, v2, 18
	v_fma_f64 v[38:39], v[14:15], 2.0, -v[40:41]
	v_cmp_gt_u32_e64 s[0:1], 7, v30
	v_lshlrev_b32_e32 v18, 4, v3
	v_sub_u32_e32 v1, v1, v2
	v_mul_u32_u24_e32 v2, 0x46, v1
	v_lshl_add_u32 v1, v2, 3, v0
	ds_write_b128 v1, v[34:37]
	ds_write_b128 v1, v[38:41] offset:224
	v_lshlrev_b32_e32 v41, 3, v2
	v_add_u32_e32 v19, 0xe0, v1
	s_and_saveexec_b64 s[4:5], s[0:1]
	s_cbranch_execz .LBB0_14
; %bb.13:
	v_fma_f64 v[2:3], v[6:7], 2.0, -v[4:5]
	v_add3_u32 v6, 0, v18, v41
	ds_write_b128 v6, v[2:5]
.LBB0_14:
	s_or_b64 exec, exec, s[4:5]
	v_add_f64 v[22:23], v[12:13], -v[28:29]
	v_add_f64 v[28:29], v[16:17], -v[20:21]
	v_lshlrev_b32_e32 v2, 3, v30
	v_add3_u32 v40, 0, v41, v2
	v_sub_u32_e32 v0, v0, v2
	v_add_f64 v[2:3], v[8:9], -v[24:25]
	v_add_u32_e32 v31, v0, v41
	s_waitcnt lgkmcnt(0)
	v_fma_f64 v[20:21], v[12:13], 2.0, -v[22:23]
	v_fma_f64 v[26:27], v[16:17], 2.0, -v[28:29]
	s_barrier
	ds_read_b64 v[6:7], v40
	ds_read2_b64 v[14:17], v31 offset0:14 offset1:28
	ds_read2_b64 v[10:13], v31 offset0:42 offset1:56
	s_waitcnt lgkmcnt(0)
	s_barrier
	ds_write_b128 v1, v[20:23]
	ds_write_b128 v19, v[26:29]
	s_and_saveexec_b64 s[4:5], s[0:1]
	s_cbranch_execz .LBB0_16
; %bb.15:
	v_fma_f64 v[0:1], v[8:9], 2.0, -v[2:3]
	v_add3_u32 v8, 0, v18, v41
	ds_write_b128 v8, v[0:3]
.LBB0_16:
	s_or_b64 exec, exec, s[4:5]
	v_and_b32_e32 v58, 1, v30
	v_lshlrev_b32_e32 v0, 6, v58
	s_waitcnt lgkmcnt(0)
	s_barrier
	global_load_dwordx4 v[22:25], v0, s[8:9]
	global_load_dwordx4 v[34:37], v0, s[8:9] offset:16
	global_load_dwordx4 v[42:45], v0, s[8:9] offset:32
	;; [unrolled: 1-line block ×3, first 2 shown]
	ds_read2_b64 v[50:53], v31 offset0:14 offset1:28
	ds_read2_b64 v[54:57], v31 offset0:42 offset1:56
	s_mov_b32 s4, 0x134454ff
	s_mov_b32 s5, 0x3fee6f0e
	;; [unrolled: 1-line block ×10, first 2 shown]
	v_cmp_gt_u32_e64 s[0:1], 10, v30
	s_waitcnt vmcnt(3) lgkmcnt(1)
	v_mul_f64 v[0:1], v[50:51], v[24:25]
	s_waitcnt vmcnt(2)
	v_mul_f64 v[8:9], v[52:53], v[36:37]
	s_waitcnt vmcnt(1) lgkmcnt(0)
	v_mul_f64 v[26:27], v[54:55], v[44:45]
	s_waitcnt vmcnt(0)
	v_mul_f64 v[28:29], v[56:57], v[48:49]
	v_mul_f64 v[24:25], v[14:15], v[24:25]
	;; [unrolled: 1-line block ×5, first 2 shown]
	v_fma_f64 v[18:19], v[14:15], v[22:23], -v[0:1]
	v_fma_f64 v[20:21], v[16:17], v[34:35], -v[8:9]
	;; [unrolled: 1-line block ×4, first 2 shown]
	v_fma_f64 v[36:37], v[50:51], v[22:23], v[24:25]
	v_fma_f64 v[34:35], v[52:53], v[34:35], v[38:39]
	v_fma_f64 v[16:17], v[54:55], v[42:43], v[44:45]
	v_fma_f64 v[14:15], v[56:57], v[46:47], v[48:49]
	v_add_f64 v[22:23], v[6:7], v[18:19]
	v_add_f64 v[38:39], v[20:21], -v[18:19]
	v_add_f64 v[0:1], v[20:21], v[26:27]
	v_add_f64 v[8:9], v[18:19], v[28:29]
	v_add_f64 v[24:25], v[28:29], -v[26:27]
	v_add_f64 v[42:43], v[26:27], -v[28:29]
	;; [unrolled: 1-line block ×4, first 2 shown]
	v_add_f64 v[22:23], v[22:23], v[20:21]
	v_lshrrev_b32_e32 v48, 1, v30
	v_fma_f64 v[0:1], v[0:1], -0.5, v[6:7]
	v_fma_f64 v[6:7], v[8:9], -0.5, v[6:7]
	v_add_f64 v[8:9], v[18:19], -v[20:21]
	v_add_f64 v[42:43], v[38:39], v[42:43]
	ds_read_b64 v[38:39], v40
	s_waitcnt lgkmcnt(0)
	s_barrier
	v_fma_f64 v[44:45], v[10:11], s[4:5], v[0:1]
	v_fma_f64 v[46:47], v[12:13], s[6:7], v[6:7]
	;; [unrolled: 1-line block ×4, first 2 shown]
	v_add_f64 v[24:25], v[8:9], v[24:25]
	v_add_f64 v[8:9], v[22:23], v[26:27]
	v_fma_f64 v[22:23], v[12:13], s[10:11], v[44:45]
	v_fma_f64 v[44:45], v[10:11], s[10:11], v[46:47]
	;; [unrolled: 1-line block ×4, first 2 shown]
	v_mul_u32_u24_e32 v0, 10, v48
	v_or_b32_e32 v46, v0, v58
	v_add_f64 v[0:1], v[8:9], v[28:29]
	v_fma_f64 v[6:7], v[24:25], s[14:15], v[22:23]
	v_fma_f64 v[8:9], v[42:43], s[14:15], v[44:45]
	;; [unrolled: 1-line block ×4, first 2 shown]
	v_lshlrev_b32_e32 v10, 3, v46
	v_add3_u32 v41, 0, v10, v41
	ds_write2_b64 v41, v[0:1], v[6:7] offset1:2
	ds_write2_b64 v41, v[8:9], v[22:23] offset0:4 offset1:6
	ds_write_b64 v41, v[24:25] offset:64
	s_waitcnt lgkmcnt(0)
	s_barrier
	s_waitcnt lgkmcnt(0)
                                        ; implicit-def: $vgpr12_vgpr13
	s_and_saveexec_b64 s[16:17], s[0:1]
	s_cbranch_execz .LBB0_18
; %bb.17:
	ds_read_b64 v[0:1], v40
	ds_read2_b64 v[6:9], v31 offset0:10 offset1:20
	ds_read2_b64 v[10:13], v31 offset0:50 offset1:60
	;; [unrolled: 1-line block ×3, first 2 shown]
	s_waitcnt lgkmcnt(1)
	v_mov_b32_e32 v4, v10
	v_mov_b32_e32 v5, v11
.LBB0_18:
	s_or_b64 exec, exec, s[16:17]
	v_add_f64 v[10:11], v[34:35], v[16:17]
	v_add_f64 v[42:43], v[36:37], v[14:15]
	;; [unrolled: 1-line block ×3, first 2 shown]
	v_add_f64 v[18:19], v[18:19], -v[28:29]
	v_add_f64 v[20:21], v[20:21], -v[26:27]
	;; [unrolled: 1-line block ×4, first 2 shown]
	s_waitcnt lgkmcnt(0)
	v_fma_f64 v[10:11], v[10:11], -0.5, v[38:39]
	v_fma_f64 v[26:27], v[42:43], -0.5, v[38:39]
	v_add_f64 v[38:39], v[14:15], -v[16:17]
	v_add_f64 v[42:43], v[16:17], -v[14:15]
	v_add_f64 v[34:35], v[44:45], v[34:35]
	s_barrier
	v_fma_f64 v[44:45], v[18:19], s[6:7], v[10:11]
	v_fma_f64 v[46:47], v[20:21], s[4:5], v[26:27]
	;; [unrolled: 1-line block ×4, first 2 shown]
	v_add_f64 v[28:29], v[28:29], v[38:39]
	v_add_f64 v[36:37], v[36:37], v[42:43]
	;; [unrolled: 1-line block ×3, first 2 shown]
	v_fma_f64 v[34:35], v[20:21], s[12:13], v[44:45]
	v_fma_f64 v[38:39], v[18:19], s[12:13], v[46:47]
	;; [unrolled: 1-line block ×4, first 2 shown]
	v_add_f64 v[10:11], v[16:17], v[14:15]
	v_fma_f64 v[14:15], v[28:29], s[14:15], v[34:35]
	v_fma_f64 v[16:17], v[36:37], s[14:15], v[38:39]
	;; [unrolled: 1-line block ×4, first 2 shown]
                                        ; implicit-def: $vgpr20_vgpr21
	ds_write2_b64 v41, v[10:11], v[14:15] offset1:2
	ds_write2_b64 v41, v[16:17], v[26:27] offset0:4 offset1:6
	ds_write_b64 v41, v[28:29] offset:64
	s_waitcnt lgkmcnt(0)
	s_barrier
	s_and_saveexec_b64 s[4:5], s[0:1]
	s_cbranch_execnz .LBB0_21
; %bb.19:
	s_or_b64 exec, exec, s[4:5]
	s_and_b64 s[0:1], vcc, s[0:1]
	s_and_saveexec_b64 s[4:5], s[0:1]
	s_cbranch_execnz .LBB0_22
.LBB0_20:
	s_endpgm
.LBB0_21:
	ds_read_b64 v[10:11], v40
	ds_read2_b64 v[14:17], v31 offset0:10 offset1:20
	ds_read2_b64 v[18:21], v31 offset0:50 offset1:60
	;; [unrolled: 1-line block ×3, first 2 shown]
	s_waitcnt lgkmcnt(1)
	v_mov_b32_e32 v2, v18
	v_mov_b32_e32 v3, v19
	s_or_b64 exec, exec, s[4:5]
	s_and_b64 s[0:1], vcc, s[0:1]
	s_and_saveexec_b64 s[4:5], s[0:1]
	s_cbranch_execz .LBB0_20
.LBB0_22:
	v_mul_u32_u24_e32 v18, 6, v30
	v_lshlrev_b32_e32 v31, 4, v18
	global_load_dwordx4 v[34:37], v31, s[8:9] offset:176
	global_load_dwordx4 v[38:41], v31, s[8:9] offset:160
	;; [unrolled: 1-line block ×3, first 2 shown]
	s_mov_b32 s10, 0xe976ee23
	s_mov_b32 s12, 0x37e14327
	;; [unrolled: 1-line block ×14, first 2 shown]
	v_mov_b32_e32 v52, s3
	v_add_co_u32_e32 v32, vcc, s2, v32
	v_addc_co_u32_e32 v33, vcc, v52, v33, vcc
	s_waitcnt vmcnt(2) lgkmcnt(0)
	v_mul_f64 v[18:19], v[28:29], v[36:37]
	s_waitcnt vmcnt(1)
	v_mul_f64 v[46:47], v[26:27], v[40:41]
	v_mul_f64 v[40:41], v[22:23], v[40:41]
	;; [unrolled: 1-line block ×3, first 2 shown]
	v_fma_f64 v[18:19], v[24:25], v[34:35], -v[18:19]
	v_fma_f64 v[46:47], v[22:23], v[38:39], -v[46:47]
	global_load_dwordx4 v[22:25], v31, s[8:9] offset:144
	v_fma_f64 v[38:39], v[26:27], v[38:39], v[40:41]
	v_fma_f64 v[40:41], v[28:29], v[34:35], v[36:37]
	global_load_dwordx4 v[26:29], v31, s[8:9] offset:128
	global_load_dwordx4 v[34:37], v31, s[8:9] offset:208
	s_waitcnt vmcnt(3)
	v_mul_f64 v[48:49], v[2:3], v[44:45]
	s_mov_b32 s8, 0xaaaaaaaa
	s_mov_b32 s9, 0xbff2aaaa
	v_mov_b32_e32 v31, 0
	v_lshlrev_b64 v[30:31], 4, v[30:31]
	v_fma_f64 v[48:49], v[4:5], v[42:43], -v[48:49]
	v_mul_f64 v[4:5], v[4:5], v[44:45]
	v_fma_f64 v[2:3], v[2:3], v[42:43], v[4:5]
	s_waitcnt vmcnt(2)
	v_mul_f64 v[50:51], v[16:17], v[24:25]
	s_waitcnt vmcnt(1)
	v_mul_f64 v[44:45], v[14:15], v[28:29]
	v_fma_f64 v[50:51], v[8:9], v[22:23], -v[50:51]
	v_mul_f64 v[8:9], v[8:9], v[24:25]
	s_waitcnt vmcnt(0)
	v_mul_f64 v[24:25], v[20:21], v[36:37]
	v_fma_f64 v[44:45], v[6:7], v[26:27], -v[44:45]
	v_mul_f64 v[6:7], v[6:7], v[28:29]
	v_add_f64 v[28:29], v[50:51], v[48:49]
	v_fma_f64 v[8:9], v[16:17], v[22:23], v[8:9]
	v_fma_f64 v[24:25], v[12:13], v[34:35], -v[24:25]
	v_mul_f64 v[12:13], v[12:13], v[36:37]
	v_fma_f64 v[4:5], v[14:15], v[26:27], v[6:7]
	v_add_f64 v[14:15], v[50:51], -v[48:49]
	v_add_f64 v[22:23], v[8:9], v[2:3]
	v_add_f64 v[16:17], v[44:45], -v[24:25]
	v_fma_f64 v[6:7], v[20:21], v[34:35], v[12:13]
	v_add_f64 v[24:25], v[44:45], v[24:25]
	v_add_f64 v[12:13], v[18:19], -v[46:47]
	v_add_f64 v[18:19], v[18:19], v[46:47]
	v_add_f64 v[34:35], v[40:41], -v[38:39]
	v_add_f64 v[2:3], v[8:9], -v[2:3]
	v_add_f64 v[20:21], v[40:41], v[38:39]
	v_add_f64 v[26:27], v[4:5], v[6:7]
	v_add_f64 v[4:5], v[4:5], -v[6:7]
	v_add_f64 v[46:47], v[28:29], v[24:25]
	v_add_f64 v[8:9], v[12:13], -v[14:15]
	v_add_f64 v[44:45], v[24:25], -v[18:19]
	;; [unrolled: 1-line block ×5, first 2 shown]
	v_add_f64 v[40:41], v[22:23], v[26:27]
	v_add_f64 v[38:39], v[26:27], -v[20:21]
	v_add_f64 v[48:49], v[34:35], v[2:3]
	v_add_f64 v[22:23], v[22:23], -v[26:27]
	v_add_f64 v[26:27], v[2:3], -v[4:5]
	v_add_f64 v[18:19], v[18:19], v[46:47]
	v_add_f64 v[6:7], v[12:13], v[14:15]
	v_add_f64 v[14:15], v[14:15], -v[16:17]
	v_add_f64 v[20:21], v[20:21], v[40:41]
	v_add_f64 v[12:13], v[16:17], -v[12:13]
	v_add_f64 v[34:35], v[4:5], -v[34:35]
	v_mul_f64 v[8:9], v[8:9], s[10:11]
	v_mul_f64 v[40:41], v[44:45], s[12:13]
	v_mul_f64 v[44:45], v[50:51], s[10:11]
	v_add_f64 v[24:25], v[28:29], -v[24:25]
	v_mul_f64 v[28:29], v[38:39], s[12:13]
	v_add_f64 v[4:5], v[48:49], v[4:5]
	v_mul_f64 v[48:49], v[26:27], s[14:15]
	v_add_f64 v[2:3], v[10:11], v[20:21]
	v_add_f64 v[0:1], v[0:1], v[18:19]
	v_mul_f64 v[46:47], v[14:15], s[14:15]
	v_add_f64 v[6:7], v[6:7], v[16:17]
	v_mul_f64 v[16:17], v[36:37], s[6:7]
	v_mul_f64 v[38:39], v[42:43], s[6:7]
	v_fma_f64 v[50:51], v[12:13], s[4:5], v[8:9]
	v_fma_f64 v[10:11], v[42:43], s[6:7], v[40:41]
	;; [unrolled: 1-line block ×3, first 2 shown]
	s_mov_b32 s5, 0xbfd5d0dc
	v_fma_f64 v[36:37], v[36:37], s[6:7], v[28:29]
	v_fma_f64 v[8:9], v[14:15], s[14:15], -v[8:9]
	v_fma_f64 v[14:15], v[26:27], s[14:15], -v[44:45]
	;; [unrolled: 1-line block ×3, first 2 shown]
	v_fma_f64 v[20:21], v[20:21], s[8:9], v[2:3]
	v_fma_f64 v[18:19], v[18:19], s[8:9], v[0:1]
	v_fma_f64 v[28:29], v[22:23], s[16:17], -v[28:29]
	v_fma_f64 v[40:41], v[24:25], s[16:17], -v[40:41]
	s_mov_b32 s17, 0x3fe77f67
	v_fma_f64 v[12:13], v[12:13], s[4:5], -v[46:47]
	v_fma_f64 v[16:17], v[22:23], s[16:17], -v[16:17]
	v_fma_f64 v[22:23], v[24:25], s[16:17], -v[38:39]
	v_fma_f64 v[24:25], v[6:7], s[0:1], v[50:51]
	v_fma_f64 v[34:35], v[4:5], s[0:1], v[42:43]
	;; [unrolled: 1-line block ×3, first 2 shown]
	v_add_f64 v[26:27], v[36:37], v[20:21]
	v_add_f64 v[36:37], v[10:11], v[18:19]
	v_fma_f64 v[44:45], v[6:7], s[0:1], v[12:13]
	v_add_f64 v[28:29], v[28:29], v[20:21]
	v_add_f64 v[40:41], v[40:41], v[18:19]
	v_fma_f64 v[38:39], v[6:7], s[0:1], v[8:9]
	v_fma_f64 v[42:43], v[4:5], s[0:1], v[14:15]
	v_add_f64 v[16:17], v[16:17], v[20:21]
	v_add_f64 v[48:49], v[22:23], v[18:19]
	;; [unrolled: 1-line block ×3, first 2 shown]
	v_add_f64 v[26:27], v[26:27], -v[24:25]
	v_add_f64 v[24:25], v[34:35], v[36:37]
	v_add_f64 v[22:23], v[28:29], -v[44:45]
	v_add_f64 v[20:21], v[46:47], v[40:41]
	v_add_f64 v[10:11], v[44:45], v[28:29]
	v_add_f64 v[14:15], v[16:17], -v[38:39]
	v_add_f64 v[18:19], v[38:39], v[16:17]
	v_add_f64 v[16:17], v[48:49], -v[42:43]
	;; [unrolled: 2-line block ×3, first 2 shown]
	v_add_f64 v[4:5], v[36:37], -v[34:35]
	v_add_co_u32_e32 v28, vcc, v32, v30
	v_addc_co_u32_e32 v29, vcc, v33, v31, vcc
	global_store_dwordx4 v[28:29], v[0:3], off
	global_store_dwordx4 v[28:29], v[24:27], off offset:160
	global_store_dwordx4 v[28:29], v[20:23], off offset:320
	;; [unrolled: 1-line block ×6, first 2 shown]
	s_endpgm
	.section	.rodata,"a",@progbits
	.p2align	6, 0x0
	.amdhsa_kernel fft_rtc_fwd_len70_factors_2_5_7_wgs_252_tpt_14_halfLds_dp_ip_CI_unitstride_sbrr_dirReg
		.amdhsa_group_segment_fixed_size 0
		.amdhsa_private_segment_fixed_size 0
		.amdhsa_kernarg_size 88
		.amdhsa_user_sgpr_count 6
		.amdhsa_user_sgpr_private_segment_buffer 1
		.amdhsa_user_sgpr_dispatch_ptr 0
		.amdhsa_user_sgpr_queue_ptr 0
		.amdhsa_user_sgpr_kernarg_segment_ptr 1
		.amdhsa_user_sgpr_dispatch_id 0
		.amdhsa_user_sgpr_flat_scratch_init 0
		.amdhsa_user_sgpr_private_segment_size 0
		.amdhsa_uses_dynamic_stack 0
		.amdhsa_system_sgpr_private_segment_wavefront_offset 0
		.amdhsa_system_sgpr_workgroup_id_x 1
		.amdhsa_system_sgpr_workgroup_id_y 0
		.amdhsa_system_sgpr_workgroup_id_z 0
		.amdhsa_system_sgpr_workgroup_info 0
		.amdhsa_system_vgpr_workitem_id 0
		.amdhsa_next_free_vgpr 59
		.amdhsa_next_free_sgpr 22
		.amdhsa_reserve_vcc 1
		.amdhsa_reserve_flat_scratch 0
		.amdhsa_float_round_mode_32 0
		.amdhsa_float_round_mode_16_64 0
		.amdhsa_float_denorm_mode_32 3
		.amdhsa_float_denorm_mode_16_64 3
		.amdhsa_dx10_clamp 1
		.amdhsa_ieee_mode 1
		.amdhsa_fp16_overflow 0
		.amdhsa_exception_fp_ieee_invalid_op 0
		.amdhsa_exception_fp_denorm_src 0
		.amdhsa_exception_fp_ieee_div_zero 0
		.amdhsa_exception_fp_ieee_overflow 0
		.amdhsa_exception_fp_ieee_underflow 0
		.amdhsa_exception_fp_ieee_inexact 0
		.amdhsa_exception_int_div_zero 0
	.end_amdhsa_kernel
	.text
.Lfunc_end0:
	.size	fft_rtc_fwd_len70_factors_2_5_7_wgs_252_tpt_14_halfLds_dp_ip_CI_unitstride_sbrr_dirReg, .Lfunc_end0-fft_rtc_fwd_len70_factors_2_5_7_wgs_252_tpt_14_halfLds_dp_ip_CI_unitstride_sbrr_dirReg
                                        ; -- End function
	.section	.AMDGPU.csdata,"",@progbits
; Kernel info:
; codeLenInByte = 3732
; NumSgprs: 26
; NumVgprs: 59
; ScratchSize: 0
; MemoryBound: 1
; FloatMode: 240
; IeeeMode: 1
; LDSByteSize: 0 bytes/workgroup (compile time only)
; SGPRBlocks: 3
; VGPRBlocks: 14
; NumSGPRsForWavesPerEU: 26
; NumVGPRsForWavesPerEU: 59
; Occupancy: 4
; WaveLimiterHint : 1
; COMPUTE_PGM_RSRC2:SCRATCH_EN: 0
; COMPUTE_PGM_RSRC2:USER_SGPR: 6
; COMPUTE_PGM_RSRC2:TRAP_HANDLER: 0
; COMPUTE_PGM_RSRC2:TGID_X_EN: 1
; COMPUTE_PGM_RSRC2:TGID_Y_EN: 0
; COMPUTE_PGM_RSRC2:TGID_Z_EN: 0
; COMPUTE_PGM_RSRC2:TIDIG_COMP_CNT: 0
	.type	__hip_cuid_476c9961df3310f3,@object ; @__hip_cuid_476c9961df3310f3
	.section	.bss,"aw",@nobits
	.globl	__hip_cuid_476c9961df3310f3
__hip_cuid_476c9961df3310f3:
	.byte	0                               ; 0x0
	.size	__hip_cuid_476c9961df3310f3, 1

	.ident	"AMD clang version 19.0.0git (https://github.com/RadeonOpenCompute/llvm-project roc-6.4.0 25133 c7fe45cf4b819c5991fe208aaa96edf142730f1d)"
	.section	".note.GNU-stack","",@progbits
	.addrsig
	.addrsig_sym __hip_cuid_476c9961df3310f3
	.amdgpu_metadata
---
amdhsa.kernels:
  - .args:
      - .actual_access:  read_only
        .address_space:  global
        .offset:         0
        .size:           8
        .value_kind:     global_buffer
      - .offset:         8
        .size:           8
        .value_kind:     by_value
      - .actual_access:  read_only
        .address_space:  global
        .offset:         16
        .size:           8
        .value_kind:     global_buffer
      - .actual_access:  read_only
        .address_space:  global
        .offset:         24
        .size:           8
        .value_kind:     global_buffer
      - .offset:         32
        .size:           8
        .value_kind:     by_value
      - .actual_access:  read_only
        .address_space:  global
        .offset:         40
        .size:           8
        .value_kind:     global_buffer
      - .actual_access:  read_only
        .address_space:  global
        .offset:         48
        .size:           8
        .value_kind:     global_buffer
      - .offset:         56
        .size:           4
        .value_kind:     by_value
      - .actual_access:  read_only
        .address_space:  global
        .offset:         64
        .size:           8
        .value_kind:     global_buffer
      - .actual_access:  read_only
        .address_space:  global
        .offset:         72
        .size:           8
        .value_kind:     global_buffer
      - .address_space:  global
        .offset:         80
        .size:           8
        .value_kind:     global_buffer
    .group_segment_fixed_size: 0
    .kernarg_segment_align: 8
    .kernarg_segment_size: 88
    .language:       OpenCL C
    .language_version:
      - 2
      - 0
    .max_flat_workgroup_size: 252
    .name:           fft_rtc_fwd_len70_factors_2_5_7_wgs_252_tpt_14_halfLds_dp_ip_CI_unitstride_sbrr_dirReg
    .private_segment_fixed_size: 0
    .sgpr_count:     26
    .sgpr_spill_count: 0
    .symbol:         fft_rtc_fwd_len70_factors_2_5_7_wgs_252_tpt_14_halfLds_dp_ip_CI_unitstride_sbrr_dirReg.kd
    .uniform_work_group_size: 1
    .uses_dynamic_stack: false
    .vgpr_count:     59
    .vgpr_spill_count: 0
    .wavefront_size: 64
amdhsa.target:   amdgcn-amd-amdhsa--gfx906
amdhsa.version:
  - 1
  - 2
...

	.end_amdgpu_metadata
